;; amdgpu-corpus repo=ROCm/rocFFT kind=compiled arch=gfx950 opt=O3
	.text
	.amdgcn_target "amdgcn-amd-amdhsa--gfx950"
	.amdhsa_code_object_version 6
	.protected	fft_rtc_fwd_len400_factors_4_10_10_wgs_120_tpt_40_halfLds_sp_ip_CI_sbrr_dirReg ; -- Begin function fft_rtc_fwd_len400_factors_4_10_10_wgs_120_tpt_40_halfLds_sp_ip_CI_sbrr_dirReg
	.globl	fft_rtc_fwd_len400_factors_4_10_10_wgs_120_tpt_40_halfLds_sp_ip_CI_sbrr_dirReg
	.p2align	8
	.type	fft_rtc_fwd_len400_factors_4_10_10_wgs_120_tpt_40_halfLds_sp_ip_CI_sbrr_dirReg,@function
fft_rtc_fwd_len400_factors_4_10_10_wgs_120_tpt_40_halfLds_sp_ip_CI_sbrr_dirReg: ; @fft_rtc_fwd_len400_factors_4_10_10_wgs_120_tpt_40_halfLds_sp_ip_CI_sbrr_dirReg
; %bb.0:
	s_load_dwordx2 s[12:13], s[0:1], 0x18
	s_load_dwordx4 s[4:7], s[0:1], 0x0
	s_load_dwordx2 s[10:11], s[0:1], 0x50
	v_mul_u32_u24_e32 v1, 0x667, v0
	v_lshrrev_b32_e32 v2, 16, v1
	s_waitcnt lgkmcnt(0)
	s_load_dwordx2 s[8:9], s[12:13], 0x0
	v_mad_u64_u32 v[2:3], s[2:3], s2, 3, v[2:3]
	v_mov_b32_e32 v6, 0
	v_mov_b32_e32 v3, v6
	v_cmp_lt_u64_e64 s[2:3], s[6:7], 2
	s_and_b64 vcc, exec, s[2:3]
	v_mov_b64_e32 v[4:5], 0
	v_mov_b64_e32 v[10:11], v[2:3]
	s_cbranch_vccnz .LBB0_8
; %bb.1:
	s_load_dwordx2 s[2:3], s[0:1], 0x10
	s_add_u32 s14, s12, 8
	s_addc_u32 s15, s13, 0
	s_mov_b64 s[16:17], 1
	v_mov_b64_e32 v[4:5], 0
	s_waitcnt lgkmcnt(0)
	s_add_u32 s18, s2, 8
	s_addc_u32 s19, s3, 0
	v_mov_b64_e32 v[8:9], v[2:3]
.LBB0_2:                                ; =>This Inner Loop Header: Depth=1
	s_load_dwordx2 s[20:21], s[18:19], 0x0
                                        ; implicit-def: $vgpr10_vgpr11
	s_waitcnt lgkmcnt(0)
	v_or_b32_e32 v7, s21, v9
	v_cmp_ne_u64_e32 vcc, 0, v[6:7]
	s_and_saveexec_b64 s[2:3], vcc
	s_xor_b64 s[22:23], exec, s[2:3]
	s_cbranch_execz .LBB0_4
; %bb.3:                                ;   in Loop: Header=BB0_2 Depth=1
	v_cvt_f32_u32_e32 v1, s20
	v_cvt_f32_u32_e32 v3, s21
	s_sub_u32 s2, 0, s20
	s_subb_u32 s3, 0, s21
	v_fmac_f32_e32 v1, 0x4f800000, v3
	v_rcp_f32_e32 v1, v1
	s_nop 0
	v_mul_f32_e32 v1, 0x5f7ffffc, v1
	v_mul_f32_e32 v3, 0x2f800000, v1
	v_trunc_f32_e32 v3, v3
	v_fmac_f32_e32 v1, 0xcf800000, v3
	v_cvt_u32_f32_e32 v3, v3
	v_cvt_u32_f32_e32 v1, v1
	v_mul_lo_u32 v7, s2, v3
	v_mul_hi_u32 v10, s2, v1
	v_mul_lo_u32 v11, s3, v1
	v_add_u32_e32 v7, v10, v7
	v_mul_lo_u32 v14, s2, v1
	v_add_u32_e32 v7, v7, v11
	v_mul_hi_u32 v10, v1, v14
	v_mul_hi_u32 v13, v1, v7
	v_mul_lo_u32 v12, v1, v7
	v_mov_b32_e32 v11, v6
	v_lshl_add_u64 v[10:11], v[10:11], 0, v[12:13]
	v_mul_hi_u32 v13, v3, v14
	v_mul_lo_u32 v14, v3, v14
	v_add_co_u32_e32 v10, vcc, v10, v14
	v_mul_hi_u32 v12, v3, v7
	s_nop 0
	v_addc_co_u32_e32 v10, vcc, v11, v13, vcc
	v_mov_b32_e32 v11, v6
	s_nop 0
	v_addc_co_u32_e32 v13, vcc, 0, v12, vcc
	v_mul_lo_u32 v12, v3, v7
	v_lshl_add_u64 v[10:11], v[10:11], 0, v[12:13]
	v_add_co_u32_e32 v1, vcc, v1, v10
	v_mul_hi_u32 v10, s2, v1
	s_nop 0
	v_addc_co_u32_e32 v3, vcc, v3, v11, vcc
	v_mul_lo_u32 v7, s2, v3
	v_add_u32_e32 v7, v10, v7
	v_mul_lo_u32 v10, s3, v1
	v_add_u32_e32 v7, v7, v10
	v_mul_lo_u32 v12, s2, v1
	v_mul_hi_u32 v15, v3, v12
	v_mul_lo_u32 v16, v3, v12
	v_mul_hi_u32 v11, v1, v7
	;; [unrolled: 2-line block ×3, first 2 shown]
	v_mov_b32_e32 v13, v6
	v_lshl_add_u64 v[10:11], v[12:13], 0, v[10:11]
	v_add_co_u32_e32 v10, vcc, v10, v16
	v_mul_hi_u32 v14, v3, v7
	s_nop 0
	v_addc_co_u32_e32 v10, vcc, v11, v15, vcc
	v_mul_lo_u32 v12, v3, v7
	s_nop 0
	v_addc_co_u32_e32 v13, vcc, 0, v14, vcc
	v_mov_b32_e32 v11, v6
	v_lshl_add_u64 v[10:11], v[10:11], 0, v[12:13]
	v_add_co_u32_e32 v1, vcc, v1, v10
	v_mul_hi_u32 v12, v8, v1
	s_nop 0
	v_addc_co_u32_e32 v3, vcc, v3, v11, vcc
	v_mad_u64_u32 v[10:11], s[2:3], v8, v3, 0
	v_mov_b32_e32 v13, v6
	v_lshl_add_u64 v[10:11], v[12:13], 0, v[10:11]
	v_mad_u64_u32 v[14:15], s[2:3], v9, v1, 0
	v_add_co_u32_e32 v1, vcc, v10, v14
	v_mad_u64_u32 v[12:13], s[2:3], v9, v3, 0
	s_nop 0
	v_addc_co_u32_e32 v10, vcc, v11, v15, vcc
	v_mov_b32_e32 v11, v6
	s_nop 0
	v_addc_co_u32_e32 v13, vcc, 0, v13, vcc
	v_lshl_add_u64 v[10:11], v[10:11], 0, v[12:13]
	v_mul_lo_u32 v1, s21, v10
	v_mul_lo_u32 v3, s20, v11
	v_mad_u64_u32 v[12:13], s[2:3], s20, v10, 0
	v_add3_u32 v1, v13, v3, v1
	v_sub_u32_e32 v3, v9, v1
	v_mov_b32_e32 v7, s21
	v_sub_co_u32_e32 v16, vcc, v8, v12
	v_lshl_add_u64 v[14:15], v[10:11], 0, 1
	s_nop 0
	v_subb_co_u32_e64 v3, s[2:3], v3, v7, vcc
	v_subrev_co_u32_e64 v7, s[2:3], s20, v16
	v_subb_co_u32_e32 v1, vcc, v9, v1, vcc
	s_nop 0
	v_subbrev_co_u32_e64 v3, s[2:3], 0, v3, s[2:3]
	v_cmp_le_u32_e64 s[2:3], s21, v3
	v_cmp_le_u32_e32 vcc, s21, v1
	s_nop 0
	v_cndmask_b32_e64 v12, 0, -1, s[2:3]
	v_cmp_le_u32_e64 s[2:3], s20, v7
	s_nop 1
	v_cndmask_b32_e64 v7, 0, -1, s[2:3]
	v_cmp_eq_u32_e64 s[2:3], s21, v3
	s_nop 1
	v_cndmask_b32_e64 v3, v12, v7, s[2:3]
	v_lshl_add_u64 v[12:13], v[10:11], 0, 2
	v_cmp_ne_u32_e64 s[2:3], 0, v3
	v_cndmask_b32_e64 v7, 0, -1, vcc
	v_cmp_le_u32_e32 vcc, s20, v16
	v_cndmask_b32_e64 v3, v15, v13, s[2:3]
	s_nop 0
	v_cndmask_b32_e64 v13, 0, -1, vcc
	v_cmp_eq_u32_e32 vcc, s21, v1
	s_nop 1
	v_cndmask_b32_e32 v1, v7, v13, vcc
	v_cmp_ne_u32_e32 vcc, 0, v1
	v_cndmask_b32_e64 v1, v14, v12, s[2:3]
	s_nop 0
	v_cndmask_b32_e32 v11, v11, v3, vcc
	v_cndmask_b32_e32 v10, v10, v1, vcc
.LBB0_4:                                ;   in Loop: Header=BB0_2 Depth=1
	s_andn2_saveexec_b64 s[2:3], s[22:23]
	s_cbranch_execz .LBB0_6
; %bb.5:                                ;   in Loop: Header=BB0_2 Depth=1
	v_cvt_f32_u32_e32 v1, s20
	s_sub_i32 s22, 0, s20
	v_mov_b32_e32 v11, v6
	v_rcp_iflag_f32_e32 v1, v1
	s_nop 0
	v_mul_f32_e32 v1, 0x4f7ffffe, v1
	v_cvt_u32_f32_e32 v1, v1
	v_mul_lo_u32 v3, s22, v1
	v_mul_hi_u32 v3, v1, v3
	v_add_u32_e32 v1, v1, v3
	v_mul_hi_u32 v1, v8, v1
	v_mul_lo_u32 v3, v1, s20
	v_sub_u32_e32 v3, v8, v3
	v_add_u32_e32 v7, 1, v1
	v_subrev_u32_e32 v10, s20, v3
	v_cmp_le_u32_e32 vcc, s20, v3
	s_nop 1
	v_cndmask_b32_e32 v3, v3, v10, vcc
	v_cndmask_b32_e32 v1, v1, v7, vcc
	v_add_u32_e32 v7, 1, v1
	v_cmp_le_u32_e32 vcc, s20, v3
	s_nop 1
	v_cndmask_b32_e32 v10, v1, v7, vcc
.LBB0_6:                                ;   in Loop: Header=BB0_2 Depth=1
	s_or_b64 exec, exec, s[2:3]
	v_mad_u64_u32 v[12:13], s[2:3], v10, s20, 0
	s_load_dwordx2 s[2:3], s[14:15], 0x0
	s_add_u32 s16, s16, 1
	v_mul_lo_u32 v1, v11, s20
	v_mul_lo_u32 v3, v10, s21
	s_addc_u32 s17, s17, 0
	v_add3_u32 v1, v13, v3, v1
	v_sub_co_u32_e32 v3, vcc, v8, v12
	s_add_u32 s14, s14, 8
	s_nop 0
	v_subb_co_u32_e32 v1, vcc, v9, v1, vcc
	s_addc_u32 s15, s15, 0
	v_mov_b64_e32 v[8:9], s[6:7]
	s_waitcnt lgkmcnt(0)
	v_mul_lo_u32 v1, s2, v1
	v_mul_lo_u32 v7, s3, v3
	v_mad_u64_u32 v[4:5], s[2:3], s2, v3, v[4:5]
	s_add_u32 s18, s18, 8
	v_cmp_ge_u64_e32 vcc, s[16:17], v[8:9]
	v_add3_u32 v5, v7, v5, v1
	s_addc_u32 s19, s19, 0
	s_cbranch_vccnz .LBB0_8
; %bb.7:                                ;   in Loop: Header=BB0_2 Depth=1
	v_mov_b64_e32 v[8:9], v[10:11]
	s_branch .LBB0_2
.LBB0_8:
	s_lshl_b64 s[2:3], s[6:7], 3
	s_add_u32 s2, s12, s2
	s_addc_u32 s3, s13, s3
	s_load_dwordx2 s[6:7], s[2:3], 0x0
	s_load_dwordx2 s[12:13], s[0:1], 0x20
	s_mov_b32 s2, 0x6666667
	s_waitcnt lgkmcnt(0)
	v_mul_lo_u32 v1, s6, v11
	v_mul_lo_u32 v3, s7, v10
	v_mad_u64_u32 v[4:5], s[0:1], s6, v10, v[4:5]
	v_add3_u32 v5, v3, v5, v1
	v_mul_hi_u32 v1, v0, s2
	v_mul_u32_u24_e32 v1, 40, v1
	v_sub_u32_e32 v37, v0, v1
	v_cmp_gt_u64_e32 vcc, s[12:13], v[10:11]
	v_cmp_le_u64_e64 s[0:1], s[12:13], v[10:11]
	v_add_u32_e32 v38, 40, v37
                                        ; implicit-def: $sgpr6
                                        ; implicit-def: $sgpr7
	s_and_saveexec_b64 s[2:3], s[0:1]
	s_xor_b64 s[0:1], exec, s[2:3]
; %bb.9:
	v_add_u32_e32 v38, 40, v37
	s_mov_b32 s7, 0
	s_mov_b32 s6, 0
; %bb.10:
	s_or_saveexec_b64 s[2:3], s[0:1]
	v_mov_b32_e32 v36, s7
	v_mov_b32_e32 v0, s6
	v_lshl_add_u64 v[4:5], v[4:5], 3, s[10:11]
	v_mov_b32_e32 v1, s6
	v_mov_b32_e32 v6, s6
	;; [unrolled: 1-line block ×3, first 2 shown]
                                        ; implicit-def: $vgpr3
                                        ; implicit-def: $vgpr15
                                        ; implicit-def: $vgpr31
                                        ; implicit-def: $vgpr9
                                        ; implicit-def: $vgpr24
                                        ; implicit-def: $vgpr26
                                        ; implicit-def: $vgpr10
                                        ; implicit-def: $vgpr20
                                        ; implicit-def: $vgpr35
                                        ; implicit-def: $vgpr13
                                        ; implicit-def: $vgpr16
                                        ; implicit-def: $vgpr22
                                        ; implicit-def: $vgpr33
                                        ; implicit-def: $vgpr19
	s_xor_b64 exec, exec, s[2:3]
	s_cbranch_execz .LBB0_14
; %bb.11:
	v_mad_u64_u32 v[0:1], s[0:1], s8, v37, 0
	v_mov_b32_e32 v6, v1
	v_mad_u64_u32 v[6:7], s[0:1], s9, v37, v[6:7]
	v_add_u32_e32 v3, 0x64, v37
	v_mov_b32_e32 v1, v6
	v_mad_u64_u32 v[6:7], s[0:1], s8, v3, 0
	v_mov_b32_e32 v8, v7
	v_mad_u64_u32 v[8:9], s[0:1], s9, v3, v[8:9]
	v_add_u32_e32 v3, 0xc8, v37
	v_mov_b32_e32 v7, v8
	v_mad_u64_u32 v[8:9], s[0:1], s8, v3, 0
	v_mov_b32_e32 v10, v9
	v_mad_u64_u32 v[10:11], s[0:1], s9, v3, v[10:11]
	v_mov_b32_e32 v9, v10
	v_add_u32_e32 v3, 0x12c, v37
	v_lshl_add_u64 v[14:15], v[8:9], 3, v[4:5]
	v_mad_u64_u32 v[8:9], s[0:1], s8, v3, 0
	v_mov_b32_e32 v10, v9
	v_mad_u64_u32 v[10:11], s[0:1], s9, v3, v[10:11]
	v_lshl_add_u64 v[0:1], v[0:1], 3, v[4:5]
	v_mov_b32_e32 v9, v10
	v_lshl_add_u64 v[6:7], v[6:7], 3, v[4:5]
	v_lshl_add_u64 v[16:17], v[8:9], 3, v[4:5]
	global_load_dwordx2 v[10:11], v[0:1], off
	global_load_dwordx2 v[12:13], v[6:7], off
	global_load_dwordx2 v[22:23], v[14:15], off
	global_load_dwordx2 v[8:9], v[16:17], off
	v_mad_u64_u32 v[0:1], s[0:1], s8, v38, 0
	v_mov_b32_e32 v6, v1
	v_mad_u64_u32 v[6:7], s[0:1], s9, v38, v[6:7]
	v_add_u32_e32 v3, 0x8c, v37
	v_mov_b32_e32 v1, v6
	v_mad_u64_u32 v[6:7], s[0:1], s8, v3, 0
	v_mov_b32_e32 v14, v7
	v_mad_u64_u32 v[14:15], s[0:1], s9, v3, v[14:15]
	v_add_u32_e32 v3, 0xf0, v37
	v_mov_b32_e32 v7, v14
	v_mad_u64_u32 v[14:15], s[0:1], s8, v3, 0
	v_mov_b32_e32 v16, v15
	v_mad_u64_u32 v[16:17], s[0:1], s9, v3, v[16:17]
	v_mov_b32_e32 v15, v16
	v_add_u32_e32 v3, 0x154, v37
	v_lshl_add_u64 v[20:21], v[14:15], 3, v[4:5]
	v_mad_u64_u32 v[14:15], s[0:1], s8, v3, 0
	v_mov_b32_e32 v16, v15
	v_mad_u64_u32 v[16:17], s[0:1], s9, v3, v[16:17]
	v_lshl_add_u64 v[0:1], v[0:1], 3, v[4:5]
	v_mov_b32_e32 v15, v16
	v_lshl_add_u64 v[6:7], v[6:7], 3, v[4:5]
	v_lshl_add_u64 v[24:25], v[14:15], 3, v[4:5]
	global_load_dwordx2 v[16:17], v[0:1], off
	global_load_dwordx2 v[18:19], v[6:7], off
	;; [unrolled: 1-line block ×4, first 2 shown]
	v_cmp_gt_u32_e64 s[0:1], 20, v37
	v_mov_b32_e32 v7, 0
	v_mov_b32_e32 v6, 0
	;; [unrolled: 1-line block ×4, first 2 shown]
                                        ; implicit-def: $vgpr27
                                        ; implicit-def: $vgpr25
	s_and_saveexec_b64 s[6:7], s[0:1]
	s_cbranch_execz .LBB0_13
; %bb.12:
	v_add_u32_e32 v3, 0x50, v37
	v_mad_u64_u32 v[0:1], s[0:1], s8, v3, 0
	v_mov_b32_e32 v6, v1
	v_mad_u64_u32 v[6:7], s[0:1], s9, v3, v[6:7]
	v_mov_b32_e32 v1, v6
	v_add_u32_e32 v3, 0xb4, v37
	v_lshl_add_u64 v[20:21], v[0:1], 3, v[4:5]
	v_mad_u64_u32 v[0:1], s[0:1], s8, v3, 0
	v_mov_b32_e32 v6, v1
	v_mad_u64_u32 v[6:7], s[0:1], s9, v3, v[6:7]
	v_mov_b32_e32 v1, v6
	v_add_u32_e32 v3, 0x118, v37
	v_lshl_add_u64 v[30:31], v[0:1], 3, v[4:5]
	;; [unrolled: 6-line block ×3, first 2 shown]
	v_mad_u64_u32 v[0:1], s[0:1], s8, v3, 0
	v_mov_b32_e32 v6, v1
	v_mad_u64_u32 v[6:7], s[0:1], s9, v3, v[6:7]
	v_mov_b32_e32 v1, v6
	v_lshl_add_u64 v[34:35], v[0:1], 3, v[4:5]
	global_load_dwordx2 v[0:1], v[20:21], off
	global_load_dwordx2 v[6:7], v[30:31], off
	;; [unrolled: 1-line block ×4, first 2 shown]
.LBB0_13:
	s_or_b64 exec, exec, s[6:7]
	v_mov_b32_e32 v36, v37
	s_waitcnt vmcnt(0)
	v_mov_b32_e32 v3, v14
	v_mov_b32_e32 v31, v8
	;; [unrolled: 1-line block ×10, first 2 shown]
.LBB0_14:
	s_or_b64 exec, exec, s[2:3]
	s_mov_b32 s0, 0xaaaaaaab
	v_mul_hi_u32 v8, v2, s0
	v_lshrrev_b32_e32 v8, 1, v8
	v_lshl_add_u32 v8, v8, 1, v8
	v_sub_u32_e32 v2, v2, v8
	v_mul_u32_u24_e32 v2, 0x190, v2
	v_pk_add_f32 v[28:29], v[6:7], v[26:27] neg_lo:[0,1] neg_hi:[0,1]
	v_add_f32_e32 v34, v13, v13
	v_add_f32_e32 v40, v7, v7
	v_mov_b32_e32 v41, v6
	v_mov_b32_e32 v42, v29
	;; [unrolled: 1-line block ×3, first 2 shown]
	v_lshlrev_b32_e32 v12, 2, v2
	v_mov_b32_e32 v2, v11
	v_sub_f32_e32 v30, v13, v9
	v_pk_add_f32 v[26:27], v[40:41], v[42:43] neg_lo:[0,1] neg_hi:[0,1]
	v_pk_add_f32 v[40:41], v[10:11], v[2:3] neg_lo:[0,1] neg_hi:[0,1]
	;; [unrolled: 1-line block ×3, first 2 shown]
	v_fma_f32 v10, v10, 2.0, -v40
	v_mov_b32_e32 v11, v40
	v_fma_f32 v34, v35, 2.0, -v9
	v_mov_b32_e32 v35, v30
	v_lshl_add_u32 v7, v37, 4, 0
	v_pk_add_f32 v[30:31], v[10:11], v[34:35] neg_lo:[0,1] neg_hi:[0,1]
	v_add_u32_e32 v39, v7, v12
	v_pk_fma_f32 v[10:11], v[10:11], 2.0, v[30:31] op_sel_hi:[1,0,1] neg_lo:[0,0,1] neg_hi:[0,0,1]
	v_mov_b32_e32 v2, v17
	v_add_f32_e32 v32, v19, v19
	ds_write2_b64 v39, v[10:11], v[30:31] offset1:1
	v_pk_add_f32 v[10:11], v[16:17], v[2:3] neg_lo:[0,1] neg_hi:[0,1]
	v_sub_f32_e32 v2, v19, v15
	v_fma_f32 v14, v16, 2.0, -v10
	v_mov_b32_e32 v15, v10
	v_pk_add_f32 v[10:11], v[32:33], v[2:3] neg_lo:[0,1] neg_hi:[0,1]
	v_mov_b32_e32 v17, v2
	v_fma_f32 v16, v33, 2.0, -v11
	v_lshl_add_u32 v13, v38, 4, 0
	v_pk_add_f32 v[2:3], v[14:15], v[16:17] neg_lo:[0,1] neg_hi:[0,1]
	v_add_u32_e32 v30, v13, v12
	v_pk_fma_f32 v[14:15], v[14:15], 2.0, v[2:3] op_sel_hi:[1,0,1] neg_lo:[0,0,1] neg_hi:[0,0,1]
	ds_write2_b64 v30, v[14:15], v[2:3] offset1:1
	v_add_u32_e32 v2, 0x50, v37
	v_pk_add_f32 v[24:25], v[0:1], v[24:25] neg_lo:[0,1] neg_hi:[0,1]
	v_cmp_gt_u32_e64 s[0:1], 20, v37
	v_lshlrev_b32_e32 v16, 4, v2
	s_and_saveexec_b64 s[2:3], s[0:1]
	s_cbranch_execz .LBB0_16
; %bb.15:
	v_fma_f32 v28, v6, 2.0, -v27
	v_fma_f32 v2, v0, 2.0, -v24
	v_mov_b32_e32 v3, v24
	v_pk_add_f32 v[14:15], v[2:3], v[28:29] neg_lo:[0,1] neg_hi:[0,1]
	v_add3_u32 v6, 0, v16, v12
	v_pk_fma_f32 v[2:3], v[2:3], 2.0, v[14:15] op_sel_hi:[1,0,1] neg_lo:[0,0,1] neg_hi:[0,0,1]
	ds_write2_b64 v6, v[2:3], v[14:15] offset1:1
.LBB0_16:
	s_or_b64 exec, exec, s[2:3]
	v_mov_b32_e32 v0, v21
	v_pk_add_f32 v[2:3], v[20:21], v[0:1] neg_lo:[0,1] neg_hi:[0,1]
	v_mov_b32_e32 v0, v23
	v_fma_f32 v14, v20, 2.0, -v2
	v_mov_b32_e32 v15, v2
	v_pk_add_f32 v[2:3], v[22:23], v[0:1] neg_lo:[0,1] neg_hi:[0,1]
	v_lshlrev_b32_e32 v0, 2, v37
	v_fma_f32 v18, v22, 2.0, -v2
	v_mov_b32_e32 v19, v2
	v_pk_add_f32 v[34:35], v[18:19], v[10:11] neg_lo:[0,1] neg_hi:[0,1]
	v_pk_add_f32 v[40:41], v[18:19], v[10:11]
	v_add3_u32 v20, 0, v12, v0
	v_mul_i32_i24_e32 v0, -12, v38
	v_mov_b32_e32 v35, v41
	v_add3_u32 v21, v13, v0, v12
	v_mul_i32_i24_e32 v0, -12, v37
	v_pk_add_f32 v[22:23], v[14:15], v[8:9] neg_lo:[0,1] neg_hi:[0,1]
	v_pk_add_f32 v[28:29], v[14:15], v[8:9]
	v_pk_fma_f32 v[42:43], v[18:19], 2.0, v[34:35] op_sel_hi:[1,0,1] neg_lo:[0,0,1] neg_hi:[0,0,1]
	v_add3_u32 v18, v7, v0, v12
	v_mov_b32_e32 v23, v29
	v_add_u32_e32 v13, 0x200, v18
	v_add_u32_e32 v0, 0x400, v18
	v_pk_fma_f32 v[32:33], v[14:15], 2.0, v[22:23] op_sel_hi:[1,0,1] neg_lo:[0,0,1] neg_hi:[0,0,1]
	s_waitcnt lgkmcnt(0)
	s_barrier
	ds_read_b32 v14, v20
	ds_read_b32 v15, v21
	ds_read2_b32 v[10:11], v18 offset0:80 offset1:120
	ds_read2_b32 v[8:9], v18 offset0:160 offset1:200
	;; [unrolled: 1-line block ×4, first 2 shown]
	s_waitcnt lgkmcnt(0)
	s_barrier
	ds_write2_b64 v39, v[32:33], v[22:23] offset1:1
	ds_write2_b64 v30, v[42:43], v[34:35] offset1:1
	s_and_saveexec_b64 s[2:3], s[0:1]
	s_cbranch_execz .LBB0_18
; %bb.17:
	v_fma_f32 v22, v1, 2.0, -v25
	v_mov_b32_e32 v23, v25
	v_pk_add_f32 v[28:29], v[22:23], v[26:27] neg_lo:[0,1] neg_hi:[0,1]
	v_pk_add_f32 v[24:25], v[24:25], v[26:27]
	v_add3_u32 v1, 0, v16, v12
	v_mov_b32_e32 v29, v25
	v_pk_fma_f32 v[22:23], v[22:23], 2.0, v[28:29] op_sel_hi:[1,0,1] neg_lo:[0,0,1] neg_hi:[0,0,1]
	ds_write2_b64 v1, v[22:23], v[28:29] offset1:1
.LBB0_18:
	s_or_b64 exec, exec, s[2:3]
	v_and_b32_e32 v1, 3, v37
	v_mul_u32_u24_e32 v16, 9, v1
	v_lshlrev_b32_e32 v19, 3, v16
	s_waitcnt lgkmcnt(0)
	s_barrier
	global_load_dwordx4 v[22:25], v19, s[4:5]
	global_load_dwordx4 v[26:29], v19, s[4:5] offset:16
	global_load_dwordx4 v[30:33], v19, s[4:5] offset:32
	;; [unrolled: 1-line block ×3, first 2 shown]
	global_load_dwordx2 v[16:17], v19, s[4:5] offset:64
	ds_read_b32 v19, v20
	ds_read_b32 v48, v21
	ds_read2_b32 v[34:35], v18 offset0:80 offset1:120
	ds_read2_b32 v[42:43], v18 offset0:160 offset1:200
	;; [unrolled: 1-line block ×4, first 2 shown]
	s_mov_b32 s0, 0x3f167918
	s_mov_b32 s1, 0xbf167918
	;; [unrolled: 1-line block ×4, first 2 shown]
	s_waitcnt lgkmcnt(0)
	s_barrier
	s_mov_b32 s2, 0x3e9e377a
	s_mov_b32 s10, 0x3f4f1bbd
	s_waitcnt vmcnt(4)
	v_mul_f32_e32 v49, v48, v23
	s_waitcnt vmcnt(3)
	v_mul_f32_e32 v52, v42, v29
	;; [unrolled: 2-line block ×3, first 2 shown]
	v_mul_f32_e32 v23, v15, v23
	v_mul_f32_e32 v50, v34, v25
	;; [unrolled: 1-line block ×5, first 2 shown]
	s_waitcnt vmcnt(1)
	v_mul_f32_e32 v56, v46, v41
	v_mul_f32_e32 v41, v2, v41
	v_fma_f32 v8, v8, v28, -v52
	v_fma_f32 v6, v6, v32, -v54
	v_mul_f32_e32 v51, v35, v27
	v_mul_f32_e32 v27, v11, v27
	;; [unrolled: 1-line block ×4, first 2 shown]
	s_waitcnt vmcnt(0)
	v_mul_f32_e32 v57, v47, v17
	v_mul_f32_e32 v17, v3, v17
	v_fma_f32 v15, v15, v22, -v49
	v_fmac_f32_e32 v23, v48, v22
	v_fma_f32 v10, v10, v24, -v50
	v_fmac_f32_e32 v25, v34, v24
	;; [unrolled: 2-line block ×3, first 2 shown]
	v_add_f32_e32 v22, v8, v6
	v_fmac_f32_e32 v27, v35, v26
	v_fmac_f32_e32 v29, v42, v28
	v_fma_f32 v9, v9, v30, -v53
	v_fmac_f32_e32 v31, v43, v30
	v_fmac_f32_e32 v33, v44, v32
	v_fma_f32 v3, v3, v16, -v57
	v_fmac_f32_e32 v17, v47, v16
	v_add_f32_e32 v16, v14, v10
	v_sub_f32_e32 v24, v25, v41
	v_sub_f32_e32 v28, v10, v8
	;; [unrolled: 1-line block ×3, first 2 shown]
	v_add_f32_e32 v32, v10, v2
	v_sub_f32_e32 v34, v8, v10
	v_sub_f32_e32 v35, v6, v2
	v_fma_f32 v22, -0.5, v22, v14
	v_fma_f32 v11, v11, v26, -v51
	v_sub_f32_e32 v26, v29, v33
	v_add_f32_e32 v16, v16, v8
	v_add_f32_e32 v28, v28, v30
	v_fmac_f32_e32 v14, -0.5, v32
	v_add_f32_e32 v30, v34, v35
	v_fmamk_f32 v34, v24, 0x3f737871, v22
	v_fmac_f32_e32 v22, 0xbf737871, v24
	v_add_f32_e32 v16, v16, v6
	v_fmamk_f32 v35, v26, 0xbf737871, v14
	v_fmac_f32_e32 v14, 0x3f737871, v26
	v_fmac_f32_e32 v34, 0x3f167918, v26
	;; [unrolled: 1-line block ×3, first 2 shown]
	v_add_f32_e32 v26, v29, v33
	v_add_f32_e32 v16, v16, v2
	v_fma_f32 v26, -0.5, v26, v19
	v_sub_f32_e32 v2, v10, v2
	v_fmac_f32_e32 v34, 0x3e9e377a, v28
	v_fmac_f32_e32 v22, 0x3e9e377a, v28
	v_fmamk_f32 v10, v2, 0xbf737871, v26
	v_sub_f32_e32 v6, v8, v6
	v_sub_f32_e32 v8, v25, v29
	;; [unrolled: 1-line block ×3, first 2 shown]
	v_fmac_f32_e32 v26, 0x3f737871, v2
	v_fmac_f32_e32 v10, 0xbf167918, v6
	v_add_f32_e32 v8, v8, v28
	v_fmac_f32_e32 v26, 0x3f167918, v6
	v_mul_f32_e32 v55, v45, v39
	v_mul_f32_e32 v39, v7, v39
	v_fmac_f32_e32 v10, 0x3e9e377a, v8
	v_fmac_f32_e32 v26, 0x3e9e377a, v8
	v_add_f32_e32 v8, v25, v41
	v_fma_f32 v7, v7, v38, -v55
	v_fmac_f32_e32 v39, v45, v38
	v_add_f32_e32 v38, v19, v25
	v_fmac_f32_e32 v19, -0.5, v8
	v_fmamk_f32 v8, v6, 0x3f737871, v19
	v_sub_f32_e32 v25, v29, v25
	v_sub_f32_e32 v28, v33, v41
	v_fmac_f32_e32 v19, 0xbf737871, v6
	v_add_f32_e32 v32, v38, v29
	v_fmac_f32_e32 v8, 0xbf167918, v2
	v_add_f32_e32 v25, v25, v28
	;; [unrolled: 2-line block ×3, first 2 shown]
	v_add_f32_e32 v32, v32, v33
	v_fmac_f32_e32 v35, 0x3f167918, v24
	v_fmac_f32_e32 v14, 0xbf167918, v24
	;; [unrolled: 1-line block ×4, first 2 shown]
	v_fma_f32 v6, -0.5, v6, v15
	v_sub_f32_e32 v25, v27, v17
	v_add_f32_e32 v24, v32, v41
	v_fmac_f32_e32 v35, 0x3e9e377a, v30
	v_fmac_f32_e32 v14, 0x3e9e377a, v30
	v_fmamk_f32 v28, v25, 0x3f737871, v6
	v_sub_f32_e32 v29, v31, v39
	v_sub_f32_e32 v30, v11, v9
	;; [unrolled: 1-line block ×3, first 2 shown]
	v_fmac_f32_e32 v6, 0xbf737871, v25
	v_fmac_f32_e32 v28, 0x3f167918, v29
	v_add_f32_e32 v30, v30, v32
	v_fmac_f32_e32 v6, 0xbf167918, v29
	v_add_f32_e32 v2, v15, v11
	v_fmac_f32_e32 v28, 0x3e9e377a, v30
	v_fmac_f32_e32 v6, 0x3e9e377a, v30
	v_add_f32_e32 v30, v11, v3
	v_add_f32_e32 v2, v2, v9
	v_fmac_f32_e32 v15, -0.5, v30
	v_add_f32_e32 v2, v2, v7
	v_fmamk_f32 v30, v29, 0xbf737871, v15
	v_sub_f32_e32 v32, v9, v11
	v_sub_f32_e32 v33, v7, v3
	v_fmac_f32_e32 v15, 0x3f737871, v29
	v_add_f32_e32 v29, v31, v39
	v_add_f32_e32 v2, v2, v3
	v_fmac_f32_e32 v30, 0x3f167918, v25
	v_add_f32_e32 v32, v32, v33
	v_fmac_f32_e32 v15, 0xbf167918, v25
	v_fma_f32 v29, -0.5, v29, v23
	v_sub_f32_e32 v3, v11, v3
	v_fmac_f32_e32 v30, 0x3e9e377a, v32
	v_fmac_f32_e32 v15, 0x3e9e377a, v32
	v_fmamk_f32 v11, v3, 0xbf737871, v29
	v_sub_f32_e32 v7, v9, v7
	v_sub_f32_e32 v9, v27, v31
	;; [unrolled: 1-line block ×3, first 2 shown]
	v_fmac_f32_e32 v29, 0x3f737871, v3
	v_add_f32_e32 v25, v23, v27
	v_fmac_f32_e32 v11, 0xbf167918, v7
	v_add_f32_e32 v9, v9, v32
	;; [unrolled: 2-line block ×3, first 2 shown]
	v_fmac_f32_e32 v11, 0x3e9e377a, v9
	v_fmac_f32_e32 v29, 0x3e9e377a, v9
	v_add_f32_e32 v9, v27, v17
	v_mul_f32_e32 v38, 0x3f4f1bbd, v6
	v_add_f32_e32 v25, v25, v39
	v_fmac_f32_e32 v23, -0.5, v9
	v_fma_f32 v38, v29, s0, -v38
	v_mul_f32_e32 v29, 0x3f4f1bbd, v29
	v_add_f32_e32 v25, v25, v17
	v_fmamk_f32 v9, v7, 0x3f737871, v23
	v_sub_f32_e32 v27, v31, v27
	v_sub_f32_e32 v17, v39, v17
	v_fma_f32 v6, v6, s1, -v29
	v_fmac_f32_e32 v9, 0xbf167918, v3
	v_add_f32_e32 v17, v27, v17
	v_fmac_f32_e32 v23, 0xbf737871, v7
	v_add_f32_e32 v29, v26, v6
	v_sub_f32_e32 v26, v26, v6
	v_lshrrev_b32_e32 v6, 2, v37
	v_fmac_f32_e32 v9, 0x3e9e377a, v17
	v_fmac_f32_e32 v23, 0x3f167918, v3
	v_mul_f32_e32 v7, 0x3f167918, v11
	v_mul_u32_u24_e32 v6, 40, v6
	v_fmac_f32_e32 v23, 0x3e9e377a, v17
	v_fmac_f32_e32 v7, 0x3f4f1bbd, v28
	v_mul_f32_e32 v27, 0x3f737871, v9
	v_mul_f32_e32 v32, 0x3e9e377a, v15
	;; [unrolled: 1-line block ×3, first 2 shown]
	v_or_b32_e32 v1, v6, v1
	v_fmac_f32_e32 v27, 0x3e9e377a, v30
	v_fma_f32 v32, v23, s6, -v32
	v_fmac_f32_e32 v28, 0x3f4f1bbd, v11
	v_mul_f32_e32 v11, 0xbf737871, v30
	v_mul_f32_e32 v23, 0x3e9e377a, v23
	v_lshlrev_b32_e32 v1, 2, v1
	v_add_f32_e32 v3, v16, v2
	v_add_f32_e32 v17, v34, v7
	v_add_f32_e32 v33, v14, v32
	v_fmac_f32_e32 v11, 0x3e9e377a, v9
	v_fma_f32 v15, v15, s7, -v23
	v_sub_f32_e32 v2, v16, v2
	v_sub_f32_e32 v16, v35, v27
	;; [unrolled: 1-line block ×3, first 2 shown]
	v_add3_u32 v1, 0, v1, v12
	v_add_f32_e32 v31, v35, v27
	v_add_f32_e32 v39, v22, v38
	;; [unrolled: 1-line block ×6, first 2 shown]
	v_sub_f32_e32 v7, v34, v7
	v_sub_f32_e32 v22, v22, v38
	;; [unrolled: 1-line block ×6, first 2 shown]
	ds_write2_b32 v1, v3, v17 offset1:4
	ds_write2_b32 v1, v31, v33 offset0:8 offset1:12
	ds_write2_b32 v1, v39, v2 offset0:16 offset1:20
	;; [unrolled: 1-line block ×4, first 2 shown]
	s_waitcnt lgkmcnt(0)
	s_barrier
	ds_read_b32 v6, v20
	ds_read_b32 v8, v21
	ds_read2_b32 v[10:11], v18 offset0:80 offset1:120
	ds_read2_b32 v[16:17], v18 offset0:160 offset1:200
	;; [unrolled: 1-line block ×4, first 2 shown]
	s_waitcnt lgkmcnt(0)
	s_barrier
	ds_write2_b32 v1, v40, v41 offset1:4
	ds_write2_b32 v1, v9, v23 offset0:8 offset1:12
	ds_write2_b32 v1, v29, v24 offset0:16 offset1:20
	;; [unrolled: 1-line block ×4, first 2 shown]
	s_waitcnt lgkmcnt(0)
	s_barrier
	s_and_saveexec_b64 s[12:13], vcc
	s_cbranch_execz .LBB0_20
; %bb.19:
	v_mul_u32_u24_e32 v0, 9, v37
	v_lshlrev_b32_e32 v7, 3, v0
	global_load_dwordx4 v[0:3], v7, s[4:5] offset:304
	global_load_dwordx2 v[34:35], v7, s[4:5] offset:352
	global_load_dwordx4 v[22:25], v7, s[4:5] offset:320
	global_load_dwordx4 v[26:29], v7, s[4:5] offset:336
	ds_read2_b32 v[38:39], v18 offset0:80 offset1:120
	ds_read2_b32 v[40:41], v18 offset0:160 offset1:200
	v_add_u32_e32 v9, 0x400, v18
	v_add_u32_e32 v18, 0x200, v18
	ds_read2_b32 v[52:53], v18 offset0:112 offset1:152
	ds_read2_b32 v[54:55], v9 offset0:64 offset1:104
	global_load_dwordx4 v[30:33], v7, s[4:5] offset:288
	v_mov_b32_e32 v44, v11
	v_mad_u64_u32 v[42:43], s[12:13], s8, v36, 0
	v_add_u32_e32 v37, 40, v36
	s_waitcnt lgkmcnt(3)
	v_mov_b32_e32 v18, v39
	v_mov_b32_e32 v60, v39
	v_add_u32_e32 v49, 0x78, v36
	v_mov_b32_e32 v56, v43
	v_mad_u64_u32 v[58:59], s[12:13], s8, v37, 0
	v_add_u32_e32 v47, 0x50, v36
	v_add_u32_e32 v51, 0xa0, v36
	v_mad_u64_u32 v[56:57], s[4:5], s9, v36, v[56:57]
	v_mov_b32_e32 v46, v17
	v_mov_b32_e32 v43, v56
	v_mad_u64_u32 v[66:67], s[4:5], s8, v51, 0
	v_mov_b32_e32 v50, v15
	v_mov_b32_e32 v48, v13
	v_lshl_add_u64 v[42:43], v[42:43], 3, v[4:5]
	ds_read_b32 v7, v20
	s_waitcnt vmcnt(4)
	v_mov_b32_e32 v62, v3
	v_mov_b32_e32 v63, v2
	v_pk_mul_f32 v[44:45], v[44:45], v[0:1] op_sel_hi:[0,1]
	s_waitcnt lgkmcnt(3)
	v_pk_mul_f32 v[62:63], v[40:41], v[62:63] op_sel_hi:[0,1]
	v_pk_fma_f32 v[18:19], v[18:19], v[0:1], v[44:45] op_sel:[0,0,1] op_sel_hi:[1,1,0]
	v_pk_fma_f32 v[44:45], v[60:61], v[0:1], v[44:45] op_sel:[0,0,1] op_sel_hi:[0,1,0] neg_lo:[1,0,0] neg_hi:[1,0,0]
	v_pk_fma_f32 v[0:1], v[16:17], v[2:3], v[62:63] neg_lo:[0,0,1] neg_hi:[0,0,1]
	v_pk_fma_f32 v[2:3], v[16:17], v[2:3], v[62:63] op_sel_hi:[0,1,1]
	v_mad_u64_u32 v[60:61], s[4:5], s8, v49, 0
	v_mov_b32_e32 v2, v59
	v_mad_u64_u32 v[16:17], s[4:5], s8, v47, 0
	v_mad_u64_u32 v[56:57], s[4:5], s9, v37, v[2:3]
	v_mov_b32_e32 v2, v61
	v_mov_b32_e32 v40, v17
	v_mad_u64_u32 v[64:65], s[4:5], s9, v49, v[2:3]
	v_mov_b32_e32 v2, v67
	v_mad_u64_u32 v[62:63], s[4:5], s9, v47, v[40:41]
	;; [unrolled: 2-line block ×3, first 2 shown]
	s_waitcnt lgkmcnt(1)
	v_mov_b32_e32 v2, v55
	v_mov_b32_e32 v40, v55
	s_waitcnt vmcnt(3)
	v_pk_mul_f32 v[50:51], v[50:51], v[34:35] op_sel_hi:[0,1]
	v_mov_b32_e32 v17, v62
	v_pk_fma_f32 v[62:63], v[2:3], v[34:35], v[50:51] op_sel:[0,0,1] op_sel_hi:[1,1,0]
	v_pk_fma_f32 v[34:35], v[40:41], v[34:35], v[50:51] op_sel:[0,0,1] op_sel_hi:[0,1,0] neg_lo:[1,0,0] neg_hi:[1,0,0]
	v_mov_b32_e32 v2, v41
	v_mov_b32_e32 v34, v41
	s_waitcnt vmcnt(2)
	v_pk_mul_f32 v[46:47], v[46:47], v[22:23] op_sel_hi:[0,1]
	v_pk_fma_f32 v[50:51], v[2:3], v[22:23], v[46:47] op_sel:[0,0,1] op_sel_hi:[1,1,0]
	v_pk_fma_f32 v[22:23], v[34:35], v[22:23], v[46:47] op_sel:[0,0,1] op_sel_hi:[0,1,0] neg_lo:[1,0,0] neg_hi:[1,0,0]
	s_waitcnt vmcnt(1)
	v_mov_b32_e32 v46, v29
	v_mov_b32_e32 v47, v28
	v_pk_mul_f32 v[46:47], v[54:55], v[46:47] op_sel_hi:[0,1]
	v_mov_b32_e32 v54, v25
	v_mov_b32_e32 v55, v24
	;; [unrolled: 1-line block ×3, first 2 shown]
	v_pk_mul_f32 v[54:55], v[52:53], v[54:55] op_sel_hi:[0,1]
	v_mov_b32_e32 v2, v53
	v_pk_mul_f32 v[48:49], v[48:49], v[26:27] op_sel_hi:[0,1]
	v_add_u32_e32 v1, 0xc8, v36
	v_pk_fma_f32 v[40:41], v[40:41], v[26:27], v[48:49] op_sel:[0,0,1] op_sel_hi:[1,1,0]
	v_pk_fma_f32 v[26:27], v[2:3], v[26:27], v[48:49] op_sel:[0,0,1] op_sel_hi:[0,1,0] neg_lo:[1,0,0] neg_hi:[1,0,0]
	v_pk_fma_f32 v[48:49], v[12:13], v[24:25], v[54:55] neg_lo:[0,0,1] neg_hi:[0,0,1]
	v_pk_fma_f32 v[12:13], v[12:13], v[24:25], v[54:55] op_sel_hi:[0,1,1]
	v_pk_fma_f32 v[24:25], v[14:15], v[28:29], v[46:47] neg_lo:[0,0,1] neg_hi:[0,0,1]
	v_pk_fma_f32 v[14:15], v[14:15], v[28:29], v[46:47] op_sel_hi:[0,1,1]
	v_mad_u64_u32 v[28:29], s[4:5], s8, v1, 0
	v_mov_b32_e32 v2, v29
	v_mad_u64_u32 v[46:47], s[4:5], s9, v1, v[2:3]
	v_add_u32_e32 v1, 0xf0, v36
	v_mov_b32_e32 v29, v46
	v_mad_u64_u32 v[46:47], s[4:5], s8, v1, 0
	v_mov_b32_e32 v2, v47
	v_mad_u64_u32 v[52:53], s[4:5], s9, v1, v[2:3]
	v_add_u32_e32 v1, 0x118, v36
	v_mov_b32_e32 v47, v52
	v_mad_u64_u32 v[52:53], s[4:5], s8, v1, 0
	v_mov_b32_e32 v2, v53
	v_mad_u64_u32 v[54:55], s[4:5], s9, v1, v[2:3]
	v_or_b32_e32 v1, 0x140, v36
	v_mov_b32_e32 v53, v54
	v_mad_u64_u32 v[54:55], s[4:5], s8, v1, 0
	v_mov_b32_e32 v2, v55
	v_mov_b32_e32 v67, v56
	v_mad_u64_u32 v[56:57], s[4:5], s9, v1, v[2:3]
	v_add_u32_e32 v1, 0x168, v36
	ds_read_b32 v14, v21
	v_mad_u64_u32 v[36:37], s[4:5], s8, v1, 0
	v_mov_b32_e32 v2, v37
	v_mov_b32_e32 v55, v56
	v_mad_u64_u32 v[56:57], s[4:5], s9, v1, v[2:3]
	v_mov_b32_e32 v1, v3
	s_waitcnt vmcnt(0)
	v_mov_b32_e32 v2, v33
	v_mov_b32_e32 v3, v32
	v_pk_mul_f32 v[2:3], v[38:39], v[2:3] op_sel_hi:[0,1]
	v_pk_mul_f32 v[8:9], v[8:9], v[30:31] op_sel_hi:[0,1]
	v_mov_b32_e32 v49, v13
	v_pk_fma_f32 v[12:13], v[10:11], v[32:33], v[2:3] neg_lo:[0,0,1] neg_hi:[0,0,1]
	v_pk_fma_f32 v[2:3], v[10:11], v[32:33], v[2:3] op_sel_hi:[0,1,1]
	v_mov_b32_e32 v51, v23
	v_mov_b32_e32 v41, v27
	s_waitcnt lgkmcnt(0)
	v_pk_fma_f32 v[20:21], v[14:15], v[30:31], v[8:9] op_sel:[0,0,1] op_sel_hi:[1,1,0]
	v_pk_fma_f32 v[8:9], v[14:15], v[30:31], v[8:9] op_sel:[0,0,1] op_sel_hi:[0,1,0] neg_lo:[1,0,0] neg_hi:[1,0,0]
	v_mov_b32_e32 v13, v3
	v_mov_b32_e32 v25, v15
	;; [unrolled: 1-line block ×5, first 2 shown]
	v_pk_add_f32 v[8:9], v[50:51], v[40:41]
	v_pk_add_f32 v[2:3], v[18:19], v[50:51] neg_lo:[0,1] neg_hi:[0,1]
	v_pk_add_f32 v[10:11], v[62:63], v[40:41] neg_lo:[0,1] neg_hi:[0,1]
	;; [unrolled: 1-line block ×3, first 2 shown]
	v_pk_fma_f32 v[8:9], v[8:9], 0.5, v[20:21] op_sel_hi:[1,0,1] neg_lo:[1,0,0] neg_hi:[1,0,0]
	v_pk_add_f32 v[22:23], v[12:13], v[0:1] neg_lo:[0,1] neg_hi:[0,1]
	v_pk_add_f32 v[26:27], v[24:25], v[48:49] neg_lo:[0,1] neg_hi:[0,1]
	v_pk_add_f32 v[2:3], v[2:3], v[10:11]
	v_pk_add_f32 v[10:11], v[50:51], v[40:41] neg_lo:[0,1] neg_hi:[0,1]
	v_pk_add_f32 v[22:23], v[22:23], v[26:27]
	v_pk_fma_f32 v[26:27], v[14:15], s[6:7], v[8:9] op_sel:[1,0,0] op_sel_hi:[0,0,1]
	v_pk_fma_f32 v[8:9], v[14:15], s[6:7], v[8:9] op_sel:[1,0,0] op_sel_hi:[0,0,1] neg_lo:[1,0,0] neg_hi:[1,0,0]
	v_pk_fma_f32 v[8:9], v[10:11], s[0:1], v[8:9] op_sel:[1,0,0] op_sel_hi:[0,0,1] neg_lo:[1,0,0] neg_hi:[1,0,0]
	v_pk_fma_f32 v[26:27], v[10:11], s[0:1], v[26:27] op_sel:[1,0,0] op_sel_hi:[0,0,1]
	v_mov_b32_e32 v30, v26
	v_mov_b32_e32 v31, v9
	v_pk_fma_f32 v[30:31], v[2:3], s[2:3], v[30:31] op_sel_hi:[1,0,1]
	v_pk_add_f32 v[34:35], v[40:41], v[62:63] neg_lo:[0,1] neg_hi:[0,1]
	v_pk_mul_f32 v[32:33], v[30:31], s[10:11] op_sel_hi:[1,0]
	v_mov_b32_e32 v61, v64
	v_pk_fma_f32 v[30:31], v[30:31], s[0:1], v[32:33] op_sel:[0,0,1] op_sel_hi:[1,1,0] neg_lo:[0,0,1] neg_hi:[0,0,1]
	v_pk_add_f32 v[32:33], v[50:51], v[18:19] neg_lo:[0,1] neg_hi:[0,1]
	v_mov_b32_e32 v37, v56
	v_pk_add_f32 v[32:33], v[32:33], v[34:35]
	v_pk_add_f32 v[34:35], v[18:19], v[62:63]
	v_lshl_add_u64 v[56:57], v[58:59], 3, v[4:5]
	v_pk_fma_f32 v[34:35], v[34:35], 0.5, v[20:21] op_sel_hi:[1,0,1] neg_lo:[1,0,0] neg_hi:[1,0,0]
	v_lshl_add_u64 v[16:17], v[16:17], 3, v[4:5]
	v_lshl_add_u64 v[58:59], v[60:61], 3, v[4:5]
	;; [unrolled: 1-line block ×8, first 2 shown]
	v_pk_fma_f32 v[36:37], v[10:11], s[6:7], v[34:35] op_sel:[1,0,0] op_sel_hi:[0,0,1] neg_lo:[1,0,0] neg_hi:[1,0,0]
	v_pk_fma_f32 v[10:11], v[10:11], s[6:7], v[34:35] op_sel:[1,0,0] op_sel_hi:[0,0,1]
	v_pk_fma_f32 v[10:11], v[14:15], s[0:1], v[10:11] op_sel:[1,0,0] op_sel_hi:[0,0,1] neg_lo:[1,0,0] neg_hi:[1,0,0]
	v_pk_fma_f32 v[14:15], v[14:15], s[0:1], v[36:37] op_sel:[1,0,0] op_sel_hi:[0,0,1]
	v_pk_add_f32 v[34:35], v[0:1], v[12:13] neg_lo:[0,1] neg_hi:[0,1]
	v_pk_add_f32 v[36:37], v[48:49], v[24:25] neg_lo:[0,1] neg_hi:[0,1]
	;; [unrolled: 1-line block ×3, first 2 shown]
	v_pk_add_f32 v[34:35], v[34:35], v[36:37]
	v_pk_add_f32 v[36:37], v[0:1], v[48:49]
	;; [unrolled: 1-line block ×3, first 2 shown]
	v_pk_fma_f32 v[36:37], v[36:37], 0.5, v[6:7] op_sel_hi:[1,0,1] neg_lo:[1,0,0] neg_hi:[1,0,0]
	v_pk_add_f32 v[64:65], v[0:1], v[48:49] neg_lo:[0,1] neg_hi:[0,1]
	v_pk_fma_f32 v[44:45], v[38:39], s[6:7], v[36:37] op_sel:[1,0,0] op_sel_hi:[0,0,1] neg_lo:[1,0,0] neg_hi:[1,0,0]
	v_pk_fma_f32 v[36:37], v[38:39], s[6:7], v[36:37] op_sel:[1,0,0] op_sel_hi:[0,0,1]
	v_pk_fma_f32 v[66:67], v[66:67], 0.5, v[6:7] op_sel_hi:[1,0,1] neg_lo:[1,0,0] neg_hi:[1,0,0]
	v_pk_fma_f32 v[36:37], v[64:65], s[0:1], v[36:37] op_sel:[1,0,0] op_sel_hi:[0,0,1]
	v_pk_fma_f32 v[44:45], v[64:65], s[0:1], v[44:45] op_sel:[1,0,0] op_sel_hi:[0,0,1] neg_lo:[1,0,0] neg_hi:[1,0,0]
	v_pk_fma_f32 v[68:69], v[64:65], s[6:7], v[66:67] op_sel:[1,0,0] op_sel_hi:[0,0,1]
	v_pk_fma_f32 v[64:65], v[64:65], s[6:7], v[66:67] op_sel:[1,0,0] op_sel_hi:[0,0,1] neg_lo:[1,0,0] neg_hi:[1,0,0]
	;; [unrolled: 2-line block ×3, first 2 shown]
	v_mov_b32_e32 v67, v11
	v_mov_b32_e32 v11, v15
	;; [unrolled: 1-line block ×3, first 2 shown]
	v_pk_fma_f32 v[10:11], v[32:33], s[2:3], v[10:11] op_sel_hi:[1,0,1]
	v_mov_b32_e32 v14, v38
	v_mov_b32_e32 v15, v65
	v_mov_b32_e32 v65, v39
	v_pk_fma_f32 v[66:67], v[32:33], s[2:3], v[66:67] op_sel_hi:[1,0,1]
	v_pk_fma_f32 v[14:15], v[34:35], s[2:3], v[14:15] op_sel_hi:[1,0,1]
	;; [unrolled: 1-line block ×3, first 2 shown]
	v_pk_mul_f32 v[34:35], v[10:11], s[6:7] op_sel_hi:[1,0]
	v_mov_b32_e32 v9, v27
	v_pk_fma_f32 v[38:39], v[10:11], s[2:3], v[34:35] op_sel:[0,0,1] op_sel_hi:[1,0,0]
	v_pk_fma_f32 v[10:11], v[10:11], s[2:3], v[34:35] op_sel:[0,0,1] op_sel_hi:[1,0,0] neg_lo:[0,0,1] neg_hi:[0,0,1]
	v_pk_fma_f32 v[2:3], v[2:3], s[2:3], v[8:9] op_sel_hi:[1,0,1]
	v_mov_b32_e32 v8, v44
	v_mov_b32_e32 v9, v37
	;; [unrolled: 1-line block ×4, first 2 shown]
	v_pk_fma_f32 v[8:9], v[22:23], s[2:3], v[8:9] op_sel_hi:[1,0,1]
	v_pk_fma_f32 v[10:11], v[22:23], s[2:3], v[36:37] op_sel_hi:[1,0,1]
	v_pk_mul_f32 v[22:23], v[2:3], s[0:1] op_sel_hi:[1,0]
	v_pk_mul_f32 v[68:69], v[66:67], s[2:3] op_sel_hi:[1,0]
	v_pk_fma_f32 v[26:27], v[2:3], s[10:11], v[22:23] op_sel:[0,0,1] op_sel_hi:[1,0,0]
	v_pk_fma_f32 v[2:3], v[2:3], s[10:11], v[22:23] op_sel:[0,0,1] op_sel_hi:[1,0,0] neg_lo:[0,0,1] neg_hi:[0,0,1]
	v_mov_b32_e32 v22, v27
	v_mov_b32_e32 v23, v2
	v_pk_add_f32 v[2:3], v[6:7], v[12:13]
	v_pk_add_f32 v[12:13], v[18:19], v[20:21]
	;; [unrolled: 1-line block ×8, first 2 shown]
	v_mov_b32_e32 v34, v39
	v_pk_add_f32 v[24:25], v[0:1], v[12:13] op_sel:[0,1] op_sel_hi:[1,0] neg_lo:[0,1] neg_hi:[0,1]
	v_pk_add_f32 v[0:1], v[0:1], v[12:13] op_sel:[0,1] op_sel_hi:[1,0]
	global_store_dwordx2 v[42:43], v[0:1], off
	v_pk_add_f32 v[0:1], v[10:11], v[22:23]
	v_pk_fma_f32 v[66:67], v[66:67], s[6:7], v[68:69] op_sel:[0,0,1] op_sel_hi:[1,1,0] neg_lo:[0,0,1] neg_hi:[0,0,1]
	global_store_dwordx2 v[56:57], v[0:1], off
	v_pk_add_f32 v[0:1], v[32:33], v[34:35]
	global_store_dwordx2 v[16:17], v[0:1], off
	v_pk_add_f32 v[0:1], v[14:15], v[66:67]
	;; [unrolled: 2-line block ×3, first 2 shown]
	v_pk_add_f32 v[2:3], v[8:9], v[30:31] neg_lo:[0,1] neg_hi:[0,1]
	v_pk_add_f32 v[6:7], v[14:15], v[66:67] neg_lo:[0,1] neg_hi:[0,1]
	;; [unrolled: 1-line block ×4, first 2 shown]
	global_store_dwordx2 v[60:61], v[0:1], off
	global_store_dwordx2 v[28:29], v[24:25], off
	;; [unrolled: 1-line block ×6, first 2 shown]
.LBB0_20:
	s_endpgm
	.section	.rodata,"a",@progbits
	.p2align	6, 0x0
	.amdhsa_kernel fft_rtc_fwd_len400_factors_4_10_10_wgs_120_tpt_40_halfLds_sp_ip_CI_sbrr_dirReg
		.amdhsa_group_segment_fixed_size 0
		.amdhsa_private_segment_fixed_size 0
		.amdhsa_kernarg_size 88
		.amdhsa_user_sgpr_count 2
		.amdhsa_user_sgpr_dispatch_ptr 0
		.amdhsa_user_sgpr_queue_ptr 0
		.amdhsa_user_sgpr_kernarg_segment_ptr 1
		.amdhsa_user_sgpr_dispatch_id 0
		.amdhsa_user_sgpr_kernarg_preload_length 0
		.amdhsa_user_sgpr_kernarg_preload_offset 0
		.amdhsa_user_sgpr_private_segment_size 0
		.amdhsa_uses_dynamic_stack 0
		.amdhsa_enable_private_segment 0
		.amdhsa_system_sgpr_workgroup_id_x 1
		.amdhsa_system_sgpr_workgroup_id_y 0
		.amdhsa_system_sgpr_workgroup_id_z 0
		.amdhsa_system_sgpr_workgroup_info 0
		.amdhsa_system_vgpr_workitem_id 0
		.amdhsa_next_free_vgpr 70
		.amdhsa_next_free_sgpr 24
		.amdhsa_accum_offset 72
		.amdhsa_reserve_vcc 1
		.amdhsa_float_round_mode_32 0
		.amdhsa_float_round_mode_16_64 0
		.amdhsa_float_denorm_mode_32 3
		.amdhsa_float_denorm_mode_16_64 3
		.amdhsa_dx10_clamp 1
		.amdhsa_ieee_mode 1
		.amdhsa_fp16_overflow 0
		.amdhsa_tg_split 0
		.amdhsa_exception_fp_ieee_invalid_op 0
		.amdhsa_exception_fp_denorm_src 0
		.amdhsa_exception_fp_ieee_div_zero 0
		.amdhsa_exception_fp_ieee_overflow 0
		.amdhsa_exception_fp_ieee_underflow 0
		.amdhsa_exception_fp_ieee_inexact 0
		.amdhsa_exception_int_div_zero 0
	.end_amdhsa_kernel
	.text
.Lfunc_end0:
	.size	fft_rtc_fwd_len400_factors_4_10_10_wgs_120_tpt_40_halfLds_sp_ip_CI_sbrr_dirReg, .Lfunc_end0-fft_rtc_fwd_len400_factors_4_10_10_wgs_120_tpt_40_halfLds_sp_ip_CI_sbrr_dirReg
                                        ; -- End function
	.section	.AMDGPU.csdata,"",@progbits
; Kernel info:
; codeLenInByte = 5596
; NumSgprs: 30
; NumVgprs: 70
; NumAgprs: 0
; TotalNumVgprs: 70
; ScratchSize: 0
; MemoryBound: 0
; FloatMode: 240
; IeeeMode: 1
; LDSByteSize: 0 bytes/workgroup (compile time only)
; SGPRBlocks: 3
; VGPRBlocks: 8
; NumSGPRsForWavesPerEU: 30
; NumVGPRsForWavesPerEU: 70
; AccumOffset: 72
; Occupancy: 7
; WaveLimiterHint : 1
; COMPUTE_PGM_RSRC2:SCRATCH_EN: 0
; COMPUTE_PGM_RSRC2:USER_SGPR: 2
; COMPUTE_PGM_RSRC2:TRAP_HANDLER: 0
; COMPUTE_PGM_RSRC2:TGID_X_EN: 1
; COMPUTE_PGM_RSRC2:TGID_Y_EN: 0
; COMPUTE_PGM_RSRC2:TGID_Z_EN: 0
; COMPUTE_PGM_RSRC2:TIDIG_COMP_CNT: 0
; COMPUTE_PGM_RSRC3_GFX90A:ACCUM_OFFSET: 17
; COMPUTE_PGM_RSRC3_GFX90A:TG_SPLIT: 0
	.text
	.p2alignl 6, 3212836864
	.fill 256, 4, 3212836864
	.type	__hip_cuid_8d3428b9227f0364,@object ; @__hip_cuid_8d3428b9227f0364
	.section	.bss,"aw",@nobits
	.globl	__hip_cuid_8d3428b9227f0364
__hip_cuid_8d3428b9227f0364:
	.byte	0                               ; 0x0
	.size	__hip_cuid_8d3428b9227f0364, 1

	.ident	"AMD clang version 19.0.0git (https://github.com/RadeonOpenCompute/llvm-project roc-6.4.0 25133 c7fe45cf4b819c5991fe208aaa96edf142730f1d)"
	.section	".note.GNU-stack","",@progbits
	.addrsig
	.addrsig_sym __hip_cuid_8d3428b9227f0364
	.amdgpu_metadata
---
amdhsa.kernels:
  - .agpr_count:     0
    .args:
      - .actual_access:  read_only
        .address_space:  global
        .offset:         0
        .size:           8
        .value_kind:     global_buffer
      - .offset:         8
        .size:           8
        .value_kind:     by_value
      - .actual_access:  read_only
        .address_space:  global
        .offset:         16
        .size:           8
        .value_kind:     global_buffer
      - .actual_access:  read_only
        .address_space:  global
        .offset:         24
        .size:           8
        .value_kind:     global_buffer
      - .offset:         32
        .size:           8
        .value_kind:     by_value
      - .actual_access:  read_only
        .address_space:  global
        .offset:         40
        .size:           8
        .value_kind:     global_buffer
      - .actual_access:  read_only
        .address_space:  global
        .offset:         48
        .size:           8
        .value_kind:     global_buffer
      - .offset:         56
        .size:           4
        .value_kind:     by_value
      - .actual_access:  read_only
        .address_space:  global
        .offset:         64
        .size:           8
        .value_kind:     global_buffer
      - .actual_access:  read_only
        .address_space:  global
        .offset:         72
        .size:           8
        .value_kind:     global_buffer
      - .address_space:  global
        .offset:         80
        .size:           8
        .value_kind:     global_buffer
    .group_segment_fixed_size: 0
    .kernarg_segment_align: 8
    .kernarg_segment_size: 88
    .language:       OpenCL C
    .language_version:
      - 2
      - 0
    .max_flat_workgroup_size: 120
    .name:           fft_rtc_fwd_len400_factors_4_10_10_wgs_120_tpt_40_halfLds_sp_ip_CI_sbrr_dirReg
    .private_segment_fixed_size: 0
    .sgpr_count:     30
    .sgpr_spill_count: 0
    .symbol:         fft_rtc_fwd_len400_factors_4_10_10_wgs_120_tpt_40_halfLds_sp_ip_CI_sbrr_dirReg.kd
    .uniform_work_group_size: 1
    .uses_dynamic_stack: false
    .vgpr_count:     70
    .vgpr_spill_count: 0
    .wavefront_size: 64
amdhsa.target:   amdgcn-amd-amdhsa--gfx950
amdhsa.version:
  - 1
  - 2
...

	.end_amdgpu_metadata
